;; amdgpu-corpus repo=ROCm/rocFFT kind=compiled arch=gfx906 opt=O3
	.text
	.amdgcn_target "amdgcn-amd-amdhsa--gfx906"
	.amdhsa_code_object_version 6
	.protected	fft_rtc_back_len3072_factors_6_4_4_4_4_2_wgs_256_tpt_256_halfLds_half_ip_CI_unitstride_sbrr_C2R_dirReg ; -- Begin function fft_rtc_back_len3072_factors_6_4_4_4_4_2_wgs_256_tpt_256_halfLds_half_ip_CI_unitstride_sbrr_C2R_dirReg
	.globl	fft_rtc_back_len3072_factors_6_4_4_4_4_2_wgs_256_tpt_256_halfLds_half_ip_CI_unitstride_sbrr_C2R_dirReg
	.p2align	8
	.type	fft_rtc_back_len3072_factors_6_4_4_4_4_2_wgs_256_tpt_256_halfLds_half_ip_CI_unitstride_sbrr_C2R_dirReg,@function
fft_rtc_back_len3072_factors_6_4_4_4_4_2_wgs_256_tpt_256_halfLds_half_ip_CI_unitstride_sbrr_C2R_dirReg: ; @fft_rtc_back_len3072_factors_6_4_4_4_4_2_wgs_256_tpt_256_halfLds_half_ip_CI_unitstride_sbrr_C2R_dirReg
; %bb.0:
	s_load_dwordx4 s[8:11], s[4:5], 0x0
	s_load_dwordx2 s[2:3], s[4:5], 0x50
	s_load_dwordx2 s[12:13], s[4:5], 0x18
	v_mov_b32_e32 v3, 0
	v_mov_b32_e32 v1, 0
	s_waitcnt lgkmcnt(0)
	v_cmp_lt_u64_e64 s[0:1], s[10:11], 2
	v_mov_b32_e32 v5, s6
	v_mov_b32_e32 v6, v3
	s_and_b64 vcc, exec, s[0:1]
	v_mov_b32_e32 v2, 0
	s_cbranch_vccnz .LBB0_8
; %bb.1:
	s_load_dwordx2 s[0:1], s[4:5], 0x10
	s_add_u32 s6, s12, 8
	s_addc_u32 s7, s13, 0
	v_mov_b32_e32 v1, 0
	v_mov_b32_e32 v2, 0
	s_waitcnt lgkmcnt(0)
	s_add_u32 s14, s0, 8
	s_addc_u32 s15, s1, 0
	s_mov_b64 s[16:17], 1
.LBB0_2:                                ; =>This Inner Loop Header: Depth=1
	s_load_dwordx2 s[18:19], s[14:15], 0x0
                                        ; implicit-def: $vgpr7_vgpr8
	s_waitcnt lgkmcnt(0)
	v_or_b32_e32 v4, s19, v6
	v_cmp_ne_u64_e32 vcc, 0, v[3:4]
	s_and_saveexec_b64 s[0:1], vcc
	s_xor_b64 s[20:21], exec, s[0:1]
	s_cbranch_execz .LBB0_4
; %bb.3:                                ;   in Loop: Header=BB0_2 Depth=1
	v_cvt_f32_u32_e32 v4, s18
	v_cvt_f32_u32_e32 v7, s19
	s_sub_u32 s0, 0, s18
	s_subb_u32 s1, 0, s19
	v_mac_f32_e32 v4, 0x4f800000, v7
	v_rcp_f32_e32 v4, v4
	v_mul_f32_e32 v4, 0x5f7ffffc, v4
	v_mul_f32_e32 v7, 0x2f800000, v4
	v_trunc_f32_e32 v7, v7
	v_mac_f32_e32 v4, 0xcf800000, v7
	v_cvt_u32_f32_e32 v7, v7
	v_cvt_u32_f32_e32 v4, v4
	v_mul_lo_u32 v8, s0, v7
	v_mul_hi_u32 v9, s0, v4
	v_mul_lo_u32 v11, s1, v4
	v_mul_lo_u32 v10, s0, v4
	v_add_u32_e32 v8, v9, v8
	v_add_u32_e32 v8, v8, v11
	v_mul_hi_u32 v9, v4, v10
	v_mul_lo_u32 v11, v4, v8
	v_mul_hi_u32 v13, v4, v8
	v_mul_hi_u32 v12, v7, v10
	v_mul_lo_u32 v10, v7, v10
	v_mul_hi_u32 v14, v7, v8
	v_add_co_u32_e32 v9, vcc, v9, v11
	v_addc_co_u32_e32 v11, vcc, 0, v13, vcc
	v_mul_lo_u32 v8, v7, v8
	v_add_co_u32_e32 v9, vcc, v9, v10
	v_addc_co_u32_e32 v9, vcc, v11, v12, vcc
	v_addc_co_u32_e32 v10, vcc, 0, v14, vcc
	v_add_co_u32_e32 v8, vcc, v9, v8
	v_addc_co_u32_e32 v9, vcc, 0, v10, vcc
	v_add_co_u32_e32 v4, vcc, v4, v8
	v_addc_co_u32_e32 v7, vcc, v7, v9, vcc
	v_mul_lo_u32 v8, s0, v7
	v_mul_hi_u32 v9, s0, v4
	v_mul_lo_u32 v10, s1, v4
	v_mul_lo_u32 v11, s0, v4
	v_add_u32_e32 v8, v9, v8
	v_add_u32_e32 v8, v8, v10
	v_mul_lo_u32 v12, v4, v8
	v_mul_hi_u32 v13, v4, v11
	v_mul_hi_u32 v14, v4, v8
	;; [unrolled: 1-line block ×3, first 2 shown]
	v_mul_lo_u32 v11, v7, v11
	v_mul_hi_u32 v9, v7, v8
	v_add_co_u32_e32 v12, vcc, v13, v12
	v_addc_co_u32_e32 v13, vcc, 0, v14, vcc
	v_mul_lo_u32 v8, v7, v8
	v_add_co_u32_e32 v11, vcc, v12, v11
	v_addc_co_u32_e32 v10, vcc, v13, v10, vcc
	v_addc_co_u32_e32 v9, vcc, 0, v9, vcc
	v_add_co_u32_e32 v8, vcc, v10, v8
	v_addc_co_u32_e32 v9, vcc, 0, v9, vcc
	v_add_co_u32_e32 v4, vcc, v4, v8
	v_addc_co_u32_e32 v9, vcc, v7, v9, vcc
	v_mad_u64_u32 v[7:8], s[0:1], v5, v9, 0
	v_mul_hi_u32 v10, v5, v4
	v_add_co_u32_e32 v11, vcc, v10, v7
	v_addc_co_u32_e32 v12, vcc, 0, v8, vcc
	v_mad_u64_u32 v[7:8], s[0:1], v6, v4, 0
	v_mad_u64_u32 v[9:10], s[0:1], v6, v9, 0
	v_add_co_u32_e32 v4, vcc, v11, v7
	v_addc_co_u32_e32 v4, vcc, v12, v8, vcc
	v_addc_co_u32_e32 v7, vcc, 0, v10, vcc
	v_add_co_u32_e32 v4, vcc, v4, v9
	v_addc_co_u32_e32 v9, vcc, 0, v7, vcc
	v_mul_lo_u32 v10, s19, v4
	v_mul_lo_u32 v11, s18, v9
	v_mad_u64_u32 v[7:8], s[0:1], s18, v4, 0
	v_add3_u32 v8, v8, v11, v10
	v_sub_u32_e32 v10, v6, v8
	v_mov_b32_e32 v11, s19
	v_sub_co_u32_e32 v7, vcc, v5, v7
	v_subb_co_u32_e64 v10, s[0:1], v10, v11, vcc
	v_subrev_co_u32_e64 v11, s[0:1], s18, v7
	v_subbrev_co_u32_e64 v10, s[0:1], 0, v10, s[0:1]
	v_cmp_le_u32_e64 s[0:1], s19, v10
	v_cndmask_b32_e64 v12, 0, -1, s[0:1]
	v_cmp_le_u32_e64 s[0:1], s18, v11
	v_cndmask_b32_e64 v11, 0, -1, s[0:1]
	v_cmp_eq_u32_e64 s[0:1], s19, v10
	v_cndmask_b32_e64 v10, v12, v11, s[0:1]
	v_add_co_u32_e64 v11, s[0:1], 2, v4
	v_addc_co_u32_e64 v12, s[0:1], 0, v9, s[0:1]
	v_add_co_u32_e64 v13, s[0:1], 1, v4
	v_addc_co_u32_e64 v14, s[0:1], 0, v9, s[0:1]
	v_subb_co_u32_e32 v8, vcc, v6, v8, vcc
	v_cmp_ne_u32_e64 s[0:1], 0, v10
	v_cmp_le_u32_e32 vcc, s19, v8
	v_cndmask_b32_e64 v10, v14, v12, s[0:1]
	v_cndmask_b32_e64 v12, 0, -1, vcc
	v_cmp_le_u32_e32 vcc, s18, v7
	v_cndmask_b32_e64 v7, 0, -1, vcc
	v_cmp_eq_u32_e32 vcc, s19, v8
	v_cndmask_b32_e32 v7, v12, v7, vcc
	v_cmp_ne_u32_e32 vcc, 0, v7
	v_cndmask_b32_e64 v7, v13, v11, s[0:1]
	v_cndmask_b32_e32 v8, v9, v10, vcc
	v_cndmask_b32_e32 v7, v4, v7, vcc
.LBB0_4:                                ;   in Loop: Header=BB0_2 Depth=1
	s_andn2_saveexec_b64 s[0:1], s[20:21]
	s_cbranch_execz .LBB0_6
; %bb.5:                                ;   in Loop: Header=BB0_2 Depth=1
	v_cvt_f32_u32_e32 v4, s18
	s_sub_i32 s20, 0, s18
	v_rcp_iflag_f32_e32 v4, v4
	v_mul_f32_e32 v4, 0x4f7ffffe, v4
	v_cvt_u32_f32_e32 v4, v4
	v_mul_lo_u32 v7, s20, v4
	v_mul_hi_u32 v7, v4, v7
	v_add_u32_e32 v4, v4, v7
	v_mul_hi_u32 v4, v5, v4
	v_mul_lo_u32 v7, v4, s18
	v_add_u32_e32 v8, 1, v4
	v_sub_u32_e32 v7, v5, v7
	v_subrev_u32_e32 v9, s18, v7
	v_cmp_le_u32_e32 vcc, s18, v7
	v_cndmask_b32_e32 v7, v7, v9, vcc
	v_cndmask_b32_e32 v4, v4, v8, vcc
	v_add_u32_e32 v8, 1, v4
	v_cmp_le_u32_e32 vcc, s18, v7
	v_cndmask_b32_e32 v7, v4, v8, vcc
	v_mov_b32_e32 v8, v3
.LBB0_6:                                ;   in Loop: Header=BB0_2 Depth=1
	s_or_b64 exec, exec, s[0:1]
	v_mul_lo_u32 v4, v8, s18
	v_mul_lo_u32 v11, v7, s19
	v_mad_u64_u32 v[9:10], s[0:1], v7, s18, 0
	s_load_dwordx2 s[0:1], s[6:7], 0x0
	s_add_u32 s16, s16, 1
	v_add3_u32 v4, v10, v11, v4
	v_sub_co_u32_e32 v5, vcc, v5, v9
	v_subb_co_u32_e32 v4, vcc, v6, v4, vcc
	s_waitcnt lgkmcnt(0)
	v_mul_lo_u32 v4, s0, v4
	v_mul_lo_u32 v6, s1, v5
	v_mad_u64_u32 v[1:2], s[0:1], s0, v5, v[1:2]
	s_addc_u32 s17, s17, 0
	s_add_u32 s6, s6, 8
	v_add3_u32 v2, v6, v2, v4
	v_mov_b32_e32 v4, s10
	v_mov_b32_e32 v5, s11
	s_addc_u32 s7, s7, 0
	v_cmp_ge_u64_e32 vcc, s[16:17], v[4:5]
	s_add_u32 s14, s14, 8
	s_addc_u32 s15, s15, 0
	s_cbranch_vccnz .LBB0_9
; %bb.7:                                ;   in Loop: Header=BB0_2 Depth=1
	v_mov_b32_e32 v5, v7
	v_mov_b32_e32 v6, v8
	s_branch .LBB0_2
.LBB0_8:
	v_mov_b32_e32 v8, v6
	v_mov_b32_e32 v7, v5
.LBB0_9:
	s_lshl_b64 s[0:1], s[10:11], 3
	s_add_u32 s0, s12, s0
	s_addc_u32 s1, s13, s1
	s_load_dwordx2 s[6:7], s[0:1], 0x0
	s_load_dwordx2 s[10:11], s[4:5], 0x20
	s_waitcnt lgkmcnt(0)
	v_mul_lo_u32 v3, s6, v8
	v_mul_lo_u32 v4, s7, v7
	v_mad_u64_u32 v[1:2], s[0:1], s6, v7, v[1:2]
	v_cmp_gt_u64_e32 vcc, s[10:11], v[7:8]
	v_add3_u32 v2, v4, v2, v3
	v_lshlrev_b64 v[1:2], 2, v[1:2]
	v_mov_b32_e32 v3, v0
	v_mov_b32_e32 v7, v1
	;; [unrolled: 1-line block ×3, first 2 shown]
	s_and_saveexec_b64 s[4:5], vcc
	s_cbranch_execz .LBB0_13
; %bb.10:
	v_mov_b32_e32 v3, s3
	v_add_co_u32_e64 v16, s[0:1], s2, v1
	v_addc_co_u32_e64 v3, s[0:1], v3, v2, s[0:1]
	v_lshlrev_b32_e32 v17, 2, v0
	v_add_co_u32_e64 v6, s[0:1], v16, v17
	v_addc_co_u32_e64 v7, s[0:1], 0, v3, s[0:1]
	v_or_b32_e32 v18, 0xc00, v17
	v_add_co_u32_e64 v8, s[0:1], v16, v18
	v_or_b32_e32 v4, 0x1000, v17
	v_addc_co_u32_e64 v9, s[0:1], 0, v3, s[0:1]
	v_add_co_u32_e64 v10, s[0:1], v16, v4
	v_or_b32_e32 v5, 0x1400, v17
	v_addc_co_u32_e64 v11, s[0:1], 0, v3, s[0:1]
	;; [unrolled: 3-line block ×4, first 2 shown]
	v_add_co_u32_e64 v4, s[0:1], v16, v19
	v_addc_co_u32_e64 v5, s[0:1], 0, v3, s[0:1]
	global_load_dword v20, v[6:7], off
	global_load_dword v21, v[6:7], off offset:1024
	global_load_dword v22, v[6:7], off offset:2048
	global_load_dword v23, v[8:9], off
	global_load_dword v24, v[10:11], off
	global_load_dword v25, v[12:13], off
	global_load_dword v26, v[14:15], off
	v_or_b32_e32 v14, 0x1c00, v17
	v_add_co_u32_e64 v6, s[0:1], v16, v14
	v_or_b32_e32 v8, 0x2000, v17
	v_addc_co_u32_e64 v7, s[0:1], 0, v3, s[0:1]
	v_add_co_u32_e64 v8, s[0:1], v16, v8
	v_or_b32_e32 v10, 0x2400, v17
	v_addc_co_u32_e64 v9, s[0:1], 0, v3, s[0:1]
	;; [unrolled: 3-line block ×3, first 2 shown]
	v_add_co_u32_e64 v12, s[0:1], v16, v12
	v_addc_co_u32_e64 v13, s[0:1], 0, v3, s[0:1]
	global_load_dword v15, v[6:7], off
	global_load_dword v16, v[8:9], off
	global_load_dword v27, v[10:11], off
	global_load_dword v28, v[12:13], off
	global_load_dword v29, v[4:5], off
	v_add_u32_e32 v6, 0, v17
	v_add_u32_e32 v7, 0, v18
	s_movk_i32 s0, 0xff
	v_add_u32_e32 v9, 0, v14
	v_add_u32_e32 v8, 0, v19
	v_mov_b32_e32 v3, v0
	v_cmp_eq_u32_e64 s[0:1], s0, v0
	s_waitcnt vmcnt(10)
	ds_write2st64_b32 v6, v20, v21 offset1:4
	s_waitcnt vmcnt(8)
	ds_write_b32 v7, v23
	s_waitcnt vmcnt(7)
	ds_write2st64_b32 v6, v22, v24 offset0:8 offset1:16
	s_waitcnt vmcnt(5)
	ds_write2st64_b32 v6, v25, v26 offset0:20 offset1:24
	s_waitcnt vmcnt(4)
	ds_write_b32 v9, v15
	s_waitcnt vmcnt(2)
	ds_write2st64_b32 v6, v16, v27 offset0:32 offset1:36
	s_waitcnt vmcnt(1)
	ds_write_b32 v6, v28 offset:10240
	s_waitcnt vmcnt(0)
	ds_write_b32 v8, v29
	v_mov_b32_e32 v7, v1
	v_mov_b32_e32 v6, v0
	s_and_saveexec_b64 s[6:7], s[0:1]
	s_cbranch_execz .LBB0_12
; %bb.11:
	global_load_dword v3, v[4:5], off offset:4
	v_mov_b32_e32 v6, 0xff
	v_mov_b32_e32 v7, 0
	s_waitcnt vmcnt(0)
	ds_write_b32 v8, v3 offset:4
	v_mov_b32_e32 v3, 0xff
.LBB0_12:
	s_or_b64 exec, exec, s[6:7]
.LBB0_13:
	s_or_b64 exec, exec, s[4:5]
	v_lshlrev_b32_e32 v8, 2, v3
	v_add_u32_e32 v7, 0, v8
	s_waitcnt lgkmcnt(0)
	s_barrier
	v_sub_u32_e32 v4, 0, v8
	ds_read_u16 v9, v7
	ds_read_u16 v11, v4 offset:12288
	s_add_u32 s4, s8, 0x2fe8
	s_addc_u32 s5, s9, 0
	v_cmp_ne_u32_e64 s[0:1], 0, v3
	v_lshlrev_b32_e32 v6, 2, v6
	s_waitcnt lgkmcnt(0)
	v_add_f16_e32 v5, v11, v9
	v_sub_f16_e32 v10, v9, v11
	s_and_saveexec_b64 s[6:7], s[0:1]
	s_xor_b64 s[0:1], exec, s[6:7]
	s_cbranch_execz .LBB0_15
; %bb.14:
	global_load_dword v12, v6, s[4:5]
	ds_read_u16 v5, v4 offset:12290
	ds_read_u16 v10, v7 offset:2
	v_add_f16_e32 v13, v11, v9
	v_sub_f16_e32 v9, v9, v11
	s_waitcnt lgkmcnt(0)
	v_add_f16_e32 v11, v5, v10
	v_sub_f16_e32 v5, v10, v5
	s_waitcnt vmcnt(0)
	v_lshrrev_b32_e32 v10, 16, v12
	v_fma_f16 v14, v9, v10, v13
	v_fma_f16 v15, v11, v10, v5
	v_fma_f16 v13, -v9, v10, v13
	v_fma_f16 v16, v11, v10, -v5
	v_fma_f16 v5, -v12, v11, v14
	v_fma_f16 v10, v9, v12, v15
	v_fma_f16 v11, v12, v11, v13
	;; [unrolled: 1-line block ×3, first 2 shown]
	v_pack_b32_f16 v9, v11, v9
	ds_write_b32 v4, v9 offset:12288
.LBB0_15:
	s_andn2_saveexec_b64 s[0:1], s[0:1]
	s_cbranch_execz .LBB0_17
; %bb.16:
	v_mov_b32_e32 v9, 0
	ds_read_b32 v11, v9 offset:6144
	s_mov_b32 s6, 0xc0004000
	s_waitcnt lgkmcnt(0)
	v_pk_mul_f16 v11, v11, s6
	ds_write_b32 v9, v11 offset:6144
.LBB0_17:
	s_or_b64 exec, exec, s[0:1]
	global_load_dword v13, v8, s[4:5] offset:1024
	global_load_dword v14, v8, s[4:5] offset:2048
	v_mov_b32_e32 v9, 0xc00
	v_lshl_or_b32 v9, v0, 2, v9
	global_load_dword v15, v9, s[4:5]
	v_or_b32_e32 v11, 0x1000, v8
	global_load_dword v16, v11, s[4:5]
	s_mov_b32 s0, 0x5040100
	v_perm_b32 v5, v10, v5, s0
	ds_write_b32 v7, v5
	v_or_b32_e32 v12, 0x1400, v8
	ds_read_b32 v5, v7 offset:1024
	ds_read_b32 v10, v4 offset:11264
	global_load_dword v17, v12, s[4:5]
	s_movk_i32 s0, 0x3aee
	s_mov_b32 s1, 0xb8003800
	s_mov_b32 s4, 0xffff
	s_waitcnt lgkmcnt(0)
	v_add_f16_e32 v18, v5, v10
	v_add_f16_sdwa v19, v10, v5 dst_sel:DWORD dst_unused:UNUSED_PAD src0_sel:WORD_1 src1_sel:WORD_1
	v_sub_f16_e32 v20, v5, v10
	v_sub_f16_sdwa v5, v5, v10 dst_sel:DWORD dst_unused:UNUSED_PAD src0_sel:WORD_1 src1_sel:WORD_1
	s_movk_i32 s5, 0x1000
	s_waitcnt vmcnt(4)
	v_lshrrev_b32_e32 v10, 16, v13
	v_fma_f16 v21, v20, v10, v18
	v_fma_f16 v22, v19, v10, v5
	v_fma_f16 v18, -v20, v10, v18
	v_fma_f16 v5, v19, v10, -v5
	v_fma_f16 v10, -v13, v19, v21
	v_fma_f16 v21, v20, v13, v22
	v_fma_f16 v18, v13, v19, v18
	;; [unrolled: 1-line block ×3, first 2 shown]
	v_pack_b32_f16 v10, v10, v21
	v_pack_b32_f16 v5, v18, v5
	ds_write_b32 v7, v10 offset:1024
	ds_write_b32 v4, v5 offset:11264
	ds_read_b32 v5, v7 offset:2048
	ds_read_b32 v13, v4 offset:10240
	s_waitcnt vmcnt(3)
	v_lshrrev_b32_e32 v18, 16, v14
	v_add_u32_e32 v10, 0, v9
	s_waitcnt lgkmcnt(0)
	v_add_f16_e32 v19, v5, v13
	v_add_f16_sdwa v20, v13, v5 dst_sel:DWORD dst_unused:UNUSED_PAD src0_sel:WORD_1 src1_sel:WORD_1
	v_sub_f16_e32 v21, v5, v13
	v_sub_f16_sdwa v5, v5, v13 dst_sel:DWORD dst_unused:UNUSED_PAD src0_sel:WORD_1 src1_sel:WORD_1
	v_fma_f16 v13, v21, v18, v19
	v_fma_f16 v22, v20, v18, v5
	v_fma_f16 v19, -v21, v18, v19
	v_fma_f16 v5, v20, v18, -v5
	v_fma_f16 v13, -v14, v20, v13
	v_fma_f16 v18, v21, v14, v22
	v_fma_f16 v19, v14, v20, v19
	;; [unrolled: 1-line block ×3, first 2 shown]
	v_pack_b32_f16 v13, v13, v18
	v_pack_b32_f16 v5, v19, v5
	ds_write_b32 v7, v13 offset:2048
	ds_write_b32 v4, v5 offset:10240
	ds_read_b32 v5, v10
	ds_read_b32 v13, v4 offset:9216
	s_waitcnt vmcnt(2)
	v_lshrrev_b32_e32 v14, 16, v15
	s_waitcnt lgkmcnt(0)
	v_add_f16_e32 v18, v5, v13
	v_add_f16_sdwa v19, v13, v5 dst_sel:DWORD dst_unused:UNUSED_PAD src0_sel:WORD_1 src1_sel:WORD_1
	v_sub_f16_e32 v20, v5, v13
	v_sub_f16_sdwa v5, v5, v13 dst_sel:DWORD dst_unused:UNUSED_PAD src0_sel:WORD_1 src1_sel:WORD_1
	v_fma_f16 v13, v20, v14, v18
	v_fma_f16 v21, v19, v14, v5
	v_fma_f16 v18, -v20, v14, v18
	v_fma_f16 v5, v19, v14, -v5
	v_fma_f16 v13, -v15, v19, v13
	v_fma_f16 v14, v20, v15, v21
	v_fma_f16 v18, v15, v19, v18
	;; [unrolled: 1-line block ×3, first 2 shown]
	v_pack_b32_f16 v13, v13, v14
	v_pack_b32_f16 v5, v18, v5
	ds_write_b32 v10, v13
	ds_write_b32 v4, v5 offset:9216
	ds_read_b32 v5, v7 offset:4096
	ds_read_b32 v13, v4 offset:8192
	s_waitcnt vmcnt(1)
	v_lshrrev_b32_e32 v14, 16, v16
	s_waitcnt lgkmcnt(0)
	v_add_f16_e32 v15, v5, v13
	v_add_f16_sdwa v18, v13, v5 dst_sel:DWORD dst_unused:UNUSED_PAD src0_sel:WORD_1 src1_sel:WORD_1
	v_sub_f16_e32 v19, v5, v13
	v_sub_f16_sdwa v5, v5, v13 dst_sel:DWORD dst_unused:UNUSED_PAD src0_sel:WORD_1 src1_sel:WORD_1
	v_fma_f16 v13, v19, v14, v15
	v_fma_f16 v20, v18, v14, v5
	v_fma_f16 v15, -v19, v14, v15
	v_fma_f16 v5, v18, v14, -v5
	v_fma_f16 v13, -v16, v18, v13
	v_fma_f16 v14, v19, v16, v20
	v_fma_f16 v15, v16, v18, v15
	v_fma_f16 v5, v19, v16, v5
	v_pack_b32_f16 v13, v13, v14
	v_pack_b32_f16 v5, v15, v5
	ds_write_b32 v7, v13 offset:4096
	ds_write_b32 v4, v5 offset:8192
	ds_read_b32 v5, v7 offset:5120
	ds_read_b32 v13, v4 offset:7168
	s_waitcnt vmcnt(0)
	v_lshrrev_b32_e32 v14, 16, v17
	s_waitcnt lgkmcnt(0)
	v_add_f16_e32 v15, v5, v13
	v_add_f16_sdwa v16, v13, v5 dst_sel:DWORD dst_unused:UNUSED_PAD src0_sel:WORD_1 src1_sel:WORD_1
	v_sub_f16_e32 v18, v5, v13
	v_sub_f16_sdwa v5, v5, v13 dst_sel:DWORD dst_unused:UNUSED_PAD src0_sel:WORD_1 src1_sel:WORD_1
	v_fma_f16 v13, v18, v14, v15
	v_fma_f16 v19, v16, v14, v5
	v_fma_f16 v15, -v18, v14, v15
	v_fma_f16 v5, v16, v14, -v5
	v_fma_f16 v13, -v17, v16, v13
	v_fma_f16 v14, v18, v17, v19
	v_fma_f16 v15, v17, v16, v15
	;; [unrolled: 1-line block ×3, first 2 shown]
	v_pack_b32_f16 v13, v13, v14
	v_pack_b32_f16 v5, v15, v5
	ds_write_b32 v7, v13 offset:5120
	ds_write_b32 v4, v5 offset:7168
	s_waitcnt lgkmcnt(0)
	s_barrier
	s_barrier
	ds_read2st64_b32 v[4:5], v7 offset0:16 offset1:20
	ds_read2st64_b32 v[13:14], v7 offset0:32 offset1:36
	;; [unrolled: 1-line block ×4, first 2 shown]
	ds_read2st64_b32 v[19:20], v7 offset1:4
	ds_read2st64_b32 v[21:22], v7 offset0:8 offset1:12
	s_waitcnt lgkmcnt(4)
	v_pk_add_f16 v23, v5, v14
	v_pk_add_f16 v24, v5, v14 neg_lo:[0,1] neg_hi:[0,1]
	s_waitcnt lgkmcnt(2)
	v_pk_add_f16 v25, v16, v18
	v_pk_add_f16 v26, v16, v18 neg_lo:[0,1] neg_hi:[0,1]
	s_waitcnt lgkmcnt(1)
	v_pk_fma_f16 v23, v23, 0.5, v20 op_sel_hi:[1,0,1] neg_lo:[1,0,0] neg_hi:[1,0,0]
	s_waitcnt lgkmcnt(0)
	v_pk_fma_f16 v25, v25, 0.5, v22 op_sel_hi:[1,0,1] neg_lo:[1,0,0] neg_hi:[1,0,0]
	v_pk_fma_f16 v27, v24, s0, v23 op_sel:[0,0,1] op_sel_hi:[1,0,0] neg_lo:[1,0,0] neg_hi:[1,0,0]
	v_pk_fma_f16 v23, v24, s0, v23 op_sel:[0,0,1] op_sel_hi:[1,0,0]
	v_pk_fma_f16 v24, v26, s0, v25 op_sel:[0,0,1] op_sel_hi:[1,0,0]
	v_pk_fma_f16 v25, v26, s0, v25 op_sel:[0,0,1] op_sel_hi:[1,0,0] neg_lo:[1,0,0] neg_hi:[1,0,0]
	v_lshrrev_b32_e32 v26, 16, v25
	v_mul_f16_e32 v28, 0x3aee, v24
	v_fma_f16 v26, v26, 0.5, -v28
	v_pk_mul_f16 v28, v25, s0 op_sel_hi:[1,0]
	v_pk_fma_f16 v29, v24, s1, v28 op_sel:[0,0,1] op_sel_hi:[1,1,0]
	v_pk_fma_f16 v28, v24, s1, v28 op_sel:[0,0,1] op_sel_hi:[1,1,0] neg_lo:[0,0,1] neg_hi:[0,0,1]
	v_lshrrev_b32_e32 v24, 16, v24
	v_mul_f16_e32 v25, -0.5, v25
	v_fma_f16 v24, v24, s0, v25
	v_bfi_b32 v25, s4, v29, v28
	v_pk_add_f16 v25, v23, v25
	v_add_f16_e32 v30, v27, v24
	v_add_f16_sdwa v31, v27, v26 dst_sel:DWORD dst_unused:UNUSED_PAD src0_sel:WORD_1 src1_sel:DWORD
	v_alignbit_b32 v30, v30, v25, 16
	v_pack_b32_f16 v25, v31, v25
	v_mad_u32_u24 v31, v3, 20, v7
	v_add_u32_e32 v32, 0x1804, v31
	s_barrier
	ds_write2_b32 v32, v25, v30 offset1:1
	v_pk_add_f16 v25, v4, v13
	v_pk_add_f16 v5, v20, v5
	v_pk_fma_f16 v25, v25, 0.5, v19 op_sel_hi:[1,0,1] neg_lo:[1,0,0] neg_hi:[1,0,0]
	v_pk_add_f16 v19, v19, v4
	v_pk_add_f16 v5, v5, v14
	;; [unrolled: 1-line block ×3, first 2 shown]
	v_pk_add_f16 v4, v4, v13 neg_lo:[0,1] neg_hi:[0,1]
	v_pk_add_f16 v13, v19, v13
	v_pk_fma_f16 v14, v14, 0.5, v21 op_sel_hi:[1,0,1] neg_lo:[1,0,0] neg_hi:[1,0,0]
	v_pk_add_f16 v19, v21, v15
	v_pk_add_f16 v15, v15, v17 neg_lo:[0,1] neg_hi:[0,1]
	v_pk_add_f16 v17, v19, v17
	v_pk_fma_f16 v19, v15, s0, v14 op_sel:[0,0,1] op_sel_hi:[1,0,0]
	v_pk_fma_f16 v14, v15, s0, v14 op_sel:[0,0,1] op_sel_hi:[1,0,0] neg_lo:[1,0,0] neg_hi:[1,0,0]
	v_lshrrev_b32_e32 v15, 16, v14
	v_mul_f16_e32 v20, 0x3aee, v19
	v_fma_f16 v15, v15, 0.5, -v20
	v_pk_mul_f16 v20, v14, s0 op_sel_hi:[1,0]
	v_pk_add_f16 v16, v22, v16
	v_pk_fma_f16 v21, v19, s1, v20 op_sel:[0,0,1] op_sel_hi:[1,1,0]
	v_pk_fma_f16 v20, v19, s1, v20 op_sel:[0,0,1] op_sel_hi:[1,1,0] neg_lo:[0,0,1] neg_hi:[0,0,1]
	v_lshrrev_b32_e32 v19, 16, v19
	v_mul_f16_e32 v14, -0.5, v14
	v_pk_add_f16 v16, v16, v18
	v_pk_fma_f16 v18, v4, s0, v25 op_sel:[0,0,1] op_sel_hi:[1,0,0] neg_lo:[1,0,0] neg_hi:[1,0,0]
	v_pk_fma_f16 v4, v4, s0, v25 op_sel:[0,0,1] op_sel_hi:[1,0,0]
	v_fma_f16 v14, v19, s0, v14
	v_bfi_b32 v19, s4, v21, v20
	v_pk_add_f16 v19, v4, v19
	v_add_f16_e32 v22, v18, v14
	v_add_f16_sdwa v25, v18, v15 dst_sel:DWORD dst_unused:UNUSED_PAD src0_sel:WORD_1 src1_sel:DWORD
	v_alignbit_b32 v22, v22, v19, 16
	v_pack_b32_f16 v19, v25, v19
	ds_write2_b32 v31, v19, v22 offset0:1 offset1:2
	v_pack_b32_f16 v15, v15, v21
	v_alignbit_b32 v19, v4, v18, 16
	v_alignbit_b32 v4, v18, v4, 16
	;; [unrolled: 1-line block ×3, first 2 shown]
	v_pk_add_f16 v15, v19, v15 neg_lo:[0,1] neg_hi:[0,1]
	v_pk_add_f16 v19, v13, v17 neg_lo:[0,1] neg_hi:[0,1]
	v_pk_add_f16 v13, v13, v17
	v_pk_add_f16 v4, v4, v14 neg_lo:[0,1] neg_hi:[0,1]
	ds_write2_b32 v31, v19, v15 offset0:3 offset1:4
	ds_write2_b32 v31, v13, v4 offset1:5
	v_alignbit_b32 v13, v23, v27, 16
	v_pack_b32_f16 v15, v26, v29
	v_pk_add_f16 v14, v5, v16
	v_add_u32_e32 v4, 0x180c, v31
	v_pk_add_f16 v5, v5, v16 neg_lo:[0,1] neg_hi:[0,1]
	v_pk_add_f16 v13, v13, v15 neg_lo:[0,1] neg_hi:[0,1]
	ds_write2_b32 v4, v5, v13 offset1:1
	v_alignbit_b32 v4, v27, v23, 16
	v_alignbit_b32 v5, v24, v28, 16
	v_pk_add_f16 v4, v4, v5 neg_lo:[0,1] neg_hi:[0,1]
	v_add_u32_e32 v5, 0x1800, v31
	ds_write2_b32 v5, v14, v4 offset1:5
	v_mul_lo_u16_e32 v5, 0xab, v0
	v_lshrrev_b16_e32 v28, 10, v5
	v_mul_lo_u16_e32 v4, 6, v28
	v_sub_u16_e32 v29, v0, v4
	v_mov_b32_e32 v14, 3
	v_mul_u32_u24_sdwa v4, v29, v14 dst_sel:DWORD dst_unused:UNUSED_PAD src0_sel:BYTE_0 src1_sel:DWORD
	v_lshlrev_b32_e32 v4, 2, v4
	s_waitcnt lgkmcnt(0)
	s_barrier
	global_load_dwordx3 v[15:17], v4, s[8:9]
	v_or_b32_e32 v4, 0x200, v3
	v_mov_b32_e32 v21, 6
	v_mul_u32_u24_e32 v30, 0x2aab, v4
	v_mul_lo_u16_sdwa v13, v30, v21 dst_sel:DWORD dst_unused:UNUSED_PAD src0_sel:WORD_1 src1_sel:DWORD
	v_sub_u16_e32 v31, v4, v13
	v_mul_lo_u16_e32 v13, 3, v31
	v_lshlrev_b32_e32 v13, 2, v13
	global_load_dwordx3 v[18:20], v13, s[8:9]
	v_or_b32_e32 v13, 0x100, v3
	v_mul_u32_u24_e32 v32, 0x2aab, v13
	v_mul_lo_u16_sdwa v21, v32, v21 dst_sel:DWORD dst_unused:UNUSED_PAD src0_sel:WORD_1 src1_sel:DWORD
	v_sub_u16_e32 v33, v13, v21
	v_mul_lo_u16_e32 v21, 3, v33
	v_lshlrev_b32_e32 v21, 2, v21
	global_load_dwordx3 v[21:23], v21, s[8:9]
	ds_read_b32 v26, v10
	ds_read_b32 v34, v7 offset:11264
	ds_read2st64_b32 v[24:25], v7 offset0:20 offset1:24
	v_mul_u32_u24_e32 v28, 24, v28
	v_or_b32_sdwa v28, v28, v29 dst_sel:DWORD dst_unused:UNUSED_PAD src0_sel:DWORD src1_sel:BYTE_0
	s_waitcnt lgkmcnt(2)
	v_lshrrev_b32_e32 v27, 16, v26
	v_lshl_add_u32 v28, v28, 2, 0
	s_movk_i32 s0, 0x60
	s_waitcnt vmcnt(2)
	v_mul_f16_sdwa v35, v15, v27 dst_sel:DWORD dst_unused:UNUSED_PAD src0_sel:WORD_1 src1_sel:DWORD
	v_fma_f16 v35, v15, v26, v35
	v_mul_f16_sdwa v26, v15, v26 dst_sel:DWORD dst_unused:UNUSED_PAD src0_sel:WORD_1 src1_sel:DWORD
	v_fma_f16 v36, v15, v27, -v26
	ds_read2st64_b32 v[26:27], v7 offset0:36 offset1:40
	s_waitcnt lgkmcnt(1)
	v_lshrrev_b32_e32 v15, 16, v25
	v_mul_f16_sdwa v37, v16, v25 dst_sel:DWORD dst_unused:UNUSED_PAD src0_sel:WORD_1 src1_sel:DWORD
	v_fma_f16 v37, v16, v15, -v37
	v_mul_f16_sdwa v15, v16, v15 dst_sel:DWORD dst_unused:UNUSED_PAD src0_sel:WORD_1 src1_sel:DWORD
	v_fma_f16 v25, v16, v25, v15
	s_waitcnt lgkmcnt(0)
	v_lshrrev_b32_e32 v15, 16, v26
	v_mul_f16_sdwa v16, v17, v26 dst_sel:DWORD dst_unused:UNUSED_PAD src0_sel:WORD_1 src1_sel:DWORD
	v_fma_f16 v38, v17, v15, -v16
	v_mul_f16_sdwa v15, v17, v15 dst_sel:DWORD dst_unused:UNUSED_PAD src0_sel:WORD_1 src1_sel:DWORD
	v_fma_f16 v26, v17, v26, v15
	v_lshrrev_b32_e32 v15, 16, v24
	s_waitcnt vmcnt(1)
	v_mul_f16_sdwa v16, v15, v18 dst_sel:DWORD dst_unused:UNUSED_PAD src0_sel:DWORD src1_sel:WORD_1
	v_fma_f16 v39, v24, v18, v16
	v_mul_f16_sdwa v16, v24, v18 dst_sel:DWORD dst_unused:UNUSED_PAD src0_sel:DWORD src1_sel:WORD_1
	v_fma_f16 v18, v15, v18, -v16
	ds_read2st64_b32 v[15:16], v7 offset0:28 offset1:32
	v_lshrrev_b32_e32 v17, 16, v34
	v_mul_f16_sdwa v24, v17, v20 dst_sel:DWORD dst_unused:UNUSED_PAD src0_sel:DWORD src1_sel:WORD_1
	v_fma_f16 v24, v34, v20, v24
	v_mul_f16_sdwa v34, v34, v20 dst_sel:DWORD dst_unused:UNUSED_PAD src0_sel:DWORD src1_sel:WORD_1
	v_fma_f16 v20, v17, v20, -v34
	s_waitcnt lgkmcnt(0)
	v_lshrrev_b32_e32 v17, 16, v16
	v_mul_f16_sdwa v34, v16, v19 dst_sel:DWORD dst_unused:UNUSED_PAD src0_sel:DWORD src1_sel:WORD_1
	v_fma_f16 v34, v17, v19, -v34
	v_mul_f16_sdwa v17, v17, v19 dst_sel:DWORD dst_unused:UNUSED_PAD src0_sel:DWORD src1_sel:WORD_1
	v_fma_f16 v19, v16, v19, v17
	v_lshrrev_b32_e32 v16, 16, v15
	s_waitcnt vmcnt(0)
	v_mul_f16_sdwa v17, v22, v16 dst_sel:DWORD dst_unused:UNUSED_PAD src0_sel:WORD_1 src1_sel:DWORD
	v_fma_f16 v40, v22, v15, v17
	v_mul_f16_sdwa v15, v22, v15 dst_sel:DWORD dst_unused:UNUSED_PAD src0_sel:WORD_1 src1_sel:DWORD
	v_fma_f16 v22, v22, v16, -v15
	ds_read2st64_b32 v[15:16], v7 offset0:8 offset1:16
	v_lshrrev_b32_e32 v17, 16, v27
	v_mul_f16_sdwa v41, v17, v23 dst_sel:DWORD dst_unused:UNUSED_PAD src0_sel:DWORD src1_sel:WORD_1
	v_fma_f16 v41, v27, v23, v41
	v_mul_f16_sdwa v27, v27, v23 dst_sel:DWORD dst_unused:UNUSED_PAD src0_sel:DWORD src1_sel:WORD_1
	v_fma_f16 v23, v17, v23, -v27
	s_waitcnt lgkmcnt(0)
	v_lshrrev_b32_e32 v17, 16, v16
	v_mul_f16_sdwa v27, v21, v16 dst_sel:DWORD dst_unused:UNUSED_PAD src0_sel:WORD_1 src1_sel:DWORD
	v_fma_f16 v27, v21, v17, -v27
	v_mul_f16_sdwa v17, v21, v17 dst_sel:DWORD dst_unused:UNUSED_PAD src0_sel:WORD_1 src1_sel:DWORD
	v_fma_f16 v21, v21, v16, v17
	ds_read2st64_b32 v[16:17], v7 offset1:4
	v_sub_f16_e32 v26, v35, v26
	v_sub_f16_e32 v38, v36, v38
	v_fma_f16 v35, v35, 2.0, -v26
	v_fma_f16 v36, v36, 2.0, -v38
	s_waitcnt lgkmcnt(0)
	v_lshrrev_b32_e32 v29, 16, v16
	v_sub_f16_e32 v25, v16, v25
	v_sub_f16_e32 v37, v29, v37
	v_fma_f16 v29, v29, 2.0, -v37
	v_fma_f16 v16, v16, 2.0, -v25
	v_sub_f16_e32 v35, v16, v35
	v_sub_f16_e32 v36, v29, v36
	v_fma_f16 v16, v16, 2.0, -v35
	v_fma_f16 v29, v29, 2.0, -v36
	v_pack_b32_f16 v16, v16, v29
	v_add_f16_e32 v29, v25, v38
	v_sub_f16_e32 v26, v37, v26
	v_fma_f16 v25, v25, 2.0, -v29
	v_fma_f16 v37, v37, 2.0, -v26
	v_pack_b32_f16 v25, v25, v37
	s_barrier
	ds_write2_b32 v28, v16, v25 offset1:6
	v_pack_b32_f16 v16, v35, v36
	v_pack_b32_f16 v25, v29, v26
	ds_write2_b32 v28, v16, v25 offset0:12 offset1:18
	v_lshrrev_b32_e32 v25, 16, v17
	v_sub_f16_e32 v16, v17, v40
	v_sub_f16_e32 v22, v25, v22
	;; [unrolled: 1-line block ×4, first 2 shown]
	v_fma_f16 v17, v17, 2.0, -v16
	v_fma_f16 v25, v25, 2.0, -v22
	;; [unrolled: 1-line block ×4, first 2 shown]
	v_sub_f16_e32 v21, v17, v21
	v_sub_f16_e32 v27, v25, v27
	v_mov_b32_e32 v26, 24
	v_fma_f16 v17, v17, 2.0, -v21
	v_fma_f16 v25, v25, 2.0, -v27
	v_mul_lo_u16_sdwa v28, v32, v26 dst_sel:DWORD dst_unused:UNUSED_PAD src0_sel:WORD_1 src1_sel:DWORD
	v_pack_b32_f16 v17, v17, v25
	v_add_f16_e32 v23, v16, v23
	v_sub_f16_e32 v25, v22, v29
	v_or_b32_e32 v28, v28, v33
	v_fma_f16 v16, v16, 2.0, -v23
	v_fma_f16 v22, v22, 2.0, -v25
	v_pack_b32_f16 v16, v16, v22
	v_and_b32_e32 v22, 0xffff, v28
	v_lshl_add_u32 v22, v22, 2, 0
	ds_write2_b32 v22, v17, v16 offset1:6
	v_pack_b32_f16 v16, v21, v27
	v_pack_b32_f16 v17, v23, v25
	ds_write2_b32 v22, v16, v17 offset0:12 offset1:18
	v_lshrrev_b32_e32 v17, 16, v15
	v_sub_f16_e32 v16, v15, v19
	v_sub_f16_e32 v21, v17, v34
	;; [unrolled: 1-line block ×4, first 2 shown]
	v_fma_f16 v15, v15, 2.0, -v16
	v_fma_f16 v17, v17, 2.0, -v21
	;; [unrolled: 1-line block ×4, first 2 shown]
	v_sub_f16_e32 v23, v15, v23
	v_sub_f16_e32 v18, v17, v18
	v_mul_lo_u16_sdwa v19, v30, v26 dst_sel:DWORD dst_unused:UNUSED_PAD src0_sel:WORD_1 src1_sel:DWORD
	v_fma_f16 v15, v15, 2.0, -v23
	v_fma_f16 v17, v17, 2.0, -v18
	v_or_b32_e32 v19, v19, v31
	v_pack_b32_f16 v15, v15, v17
	v_add_f16_e32 v17, v16, v20
	v_sub_f16_e32 v20, v21, v22
	v_fma_f16 v16, v16, 2.0, -v17
	v_fma_f16 v21, v21, 2.0, -v20
	v_and_b32_e32 v19, 0xffff, v19
	v_lshl_add_u32 v19, v19, 2, 0
	v_pack_b32_f16 v16, v16, v21
	ds_write2_b32 v19, v15, v16 offset1:6
	v_pack_b32_f16 v15, v23, v18
	v_pack_b32_f16 v16, v17, v20
	v_lshrrev_b16_e32 v28, 12, v5
	ds_write2_b32 v19, v15, v16 offset0:12 offset1:18
	v_mul_lo_u16_e32 v15, 24, v28
	v_sub_u16_e32 v29, v0, v15
	v_mul_u32_u24_sdwa v15, v29, v14 dst_sel:DWORD dst_unused:UNUSED_PAD src0_sel:BYTE_0 src1_sel:DWORD
	v_lshlrev_b32_e32 v15, 2, v15
	s_waitcnt lgkmcnt(0)
	s_barrier
	global_load_dwordx3 v[15:17], v15, s[8:9] offset:72
	v_mul_u32_u24_e32 v30, 0xaab, v4
	v_mul_lo_u16_sdwa v18, v30, v26 dst_sel:DWORD dst_unused:UNUSED_PAD src0_sel:WORD_1 src1_sel:DWORD
	v_sub_u16_e32 v31, v4, v18
	v_mul_lo_u16_e32 v18, 3, v31
	v_lshlrev_b32_e32 v18, 2, v18
	global_load_dwordx3 v[18:20], v18, s[8:9] offset:72
	v_mul_u32_u24_e32 v32, 0xaab, v13
	v_mul_lo_u16_sdwa v21, v32, v26 dst_sel:DWORD dst_unused:UNUSED_PAD src0_sel:WORD_1 src1_sel:DWORD
	v_sub_u16_e32 v33, v13, v21
	v_mul_lo_u16_e32 v21, 3, v33
	v_lshlrev_b32_e32 v21, 2, v21
	global_load_dwordx3 v[21:23], v21, s[8:9] offset:72
	ds_read_b32 v26, v10
	ds_read_b32 v34, v7 offset:11264
	ds_read2st64_b32 v[24:25], v7 offset0:20 offset1:24
	v_mul_u32_u24_e32 v28, 0x60, v28
	v_or_b32_sdwa v28, v28, v29 dst_sel:DWORD dst_unused:UNUSED_PAD src0_sel:DWORD src1_sel:BYTE_0
	s_waitcnt lgkmcnt(2)
	v_lshrrev_b32_e32 v27, 16, v26
	v_lshl_add_u32 v28, v28, 2, 0
	s_waitcnt vmcnt(2)
	v_mul_f16_sdwa v35, v15, v27 dst_sel:DWORD dst_unused:UNUSED_PAD src0_sel:WORD_1 src1_sel:DWORD
	v_fma_f16 v35, v15, v26, v35
	v_mul_f16_sdwa v26, v15, v26 dst_sel:DWORD dst_unused:UNUSED_PAD src0_sel:WORD_1 src1_sel:DWORD
	v_fma_f16 v36, v15, v27, -v26
	ds_read2st64_b32 v[26:27], v7 offset0:36 offset1:40
	s_waitcnt lgkmcnt(1)
	v_lshrrev_b32_e32 v15, 16, v25
	v_mul_f16_sdwa v37, v16, v25 dst_sel:DWORD dst_unused:UNUSED_PAD src0_sel:WORD_1 src1_sel:DWORD
	v_fma_f16 v37, v16, v15, -v37
	v_mul_f16_sdwa v15, v16, v15 dst_sel:DWORD dst_unused:UNUSED_PAD src0_sel:WORD_1 src1_sel:DWORD
	v_fma_f16 v25, v16, v25, v15
	s_waitcnt lgkmcnt(0)
	v_lshrrev_b32_e32 v15, 16, v26
	v_mul_f16_sdwa v16, v17, v26 dst_sel:DWORD dst_unused:UNUSED_PAD src0_sel:WORD_1 src1_sel:DWORD
	v_fma_f16 v38, v17, v15, -v16
	v_mul_f16_sdwa v15, v17, v15 dst_sel:DWORD dst_unused:UNUSED_PAD src0_sel:WORD_1 src1_sel:DWORD
	v_fma_f16 v26, v17, v26, v15
	v_lshrrev_b32_e32 v15, 16, v24
	s_waitcnt vmcnt(1)
	v_mul_f16_sdwa v16, v15, v18 dst_sel:DWORD dst_unused:UNUSED_PAD src0_sel:DWORD src1_sel:WORD_1
	v_fma_f16 v39, v24, v18, v16
	v_mul_f16_sdwa v16, v24, v18 dst_sel:DWORD dst_unused:UNUSED_PAD src0_sel:DWORD src1_sel:WORD_1
	v_fma_f16 v18, v15, v18, -v16
	ds_read2st64_b32 v[15:16], v7 offset0:28 offset1:32
	v_lshrrev_b32_e32 v17, 16, v34
	v_mul_f16_sdwa v24, v17, v20 dst_sel:DWORD dst_unused:UNUSED_PAD src0_sel:DWORD src1_sel:WORD_1
	v_fma_f16 v24, v34, v20, v24
	v_mul_f16_sdwa v34, v34, v20 dst_sel:DWORD dst_unused:UNUSED_PAD src0_sel:DWORD src1_sel:WORD_1
	v_fma_f16 v20, v17, v20, -v34
	s_waitcnt lgkmcnt(0)
	v_lshrrev_b32_e32 v17, 16, v16
	v_mul_f16_sdwa v34, v16, v19 dst_sel:DWORD dst_unused:UNUSED_PAD src0_sel:DWORD src1_sel:WORD_1
	v_fma_f16 v34, v17, v19, -v34
	v_mul_f16_sdwa v17, v17, v19 dst_sel:DWORD dst_unused:UNUSED_PAD src0_sel:DWORD src1_sel:WORD_1
	v_fma_f16 v19, v16, v19, v17
	v_lshrrev_b32_e32 v16, 16, v15
	s_waitcnt vmcnt(0)
	v_mul_f16_sdwa v17, v22, v16 dst_sel:DWORD dst_unused:UNUSED_PAD src0_sel:WORD_1 src1_sel:DWORD
	v_fma_f16 v40, v22, v15, v17
	v_mul_f16_sdwa v15, v22, v15 dst_sel:DWORD dst_unused:UNUSED_PAD src0_sel:WORD_1 src1_sel:DWORD
	v_fma_f16 v22, v22, v16, -v15
	ds_read2st64_b32 v[15:16], v7 offset0:8 offset1:16
	v_lshrrev_b32_e32 v17, 16, v27
	v_mul_f16_sdwa v41, v17, v23 dst_sel:DWORD dst_unused:UNUSED_PAD src0_sel:DWORD src1_sel:WORD_1
	v_fma_f16 v41, v27, v23, v41
	v_mul_f16_sdwa v27, v27, v23 dst_sel:DWORD dst_unused:UNUSED_PAD src0_sel:DWORD src1_sel:WORD_1
	v_fma_f16 v23, v17, v23, -v27
	s_waitcnt lgkmcnt(0)
	v_lshrrev_b32_e32 v17, 16, v16
	v_mul_f16_sdwa v27, v21, v16 dst_sel:DWORD dst_unused:UNUSED_PAD src0_sel:WORD_1 src1_sel:DWORD
	v_fma_f16 v27, v21, v17, -v27
	v_mul_f16_sdwa v17, v21, v17 dst_sel:DWORD dst_unused:UNUSED_PAD src0_sel:WORD_1 src1_sel:DWORD
	v_fma_f16 v21, v21, v16, v17
	ds_read2st64_b32 v[16:17], v7 offset1:4
	v_sub_f16_e32 v26, v35, v26
	v_sub_f16_e32 v38, v36, v38
	v_fma_f16 v35, v35, 2.0, -v26
	v_fma_f16 v36, v36, 2.0, -v38
	s_waitcnt lgkmcnt(0)
	v_lshrrev_b32_e32 v29, 16, v16
	v_sub_f16_e32 v25, v16, v25
	v_sub_f16_e32 v37, v29, v37
	v_fma_f16 v29, v29, 2.0, -v37
	v_fma_f16 v16, v16, 2.0, -v25
	v_sub_f16_e32 v35, v16, v35
	v_sub_f16_e32 v36, v29, v36
	v_fma_f16 v16, v16, 2.0, -v35
	v_fma_f16 v29, v29, 2.0, -v36
	v_pack_b32_f16 v16, v16, v29
	v_add_f16_e32 v29, v25, v38
	v_sub_f16_e32 v26, v37, v26
	v_fma_f16 v25, v25, 2.0, -v29
	v_fma_f16 v37, v37, 2.0, -v26
	v_pack_b32_f16 v25, v25, v37
	s_barrier
	ds_write2_b32 v28, v16, v25 offset1:24
	v_pack_b32_f16 v16, v35, v36
	v_pack_b32_f16 v25, v29, v26
	ds_write2_b32 v28, v16, v25 offset0:48 offset1:72
	v_lshrrev_b32_e32 v25, 16, v17
	v_sub_f16_e32 v16, v17, v40
	v_sub_f16_e32 v22, v25, v22
	;; [unrolled: 1-line block ×4, first 2 shown]
	v_fma_f16 v17, v17, 2.0, -v16
	v_fma_f16 v25, v25, 2.0, -v22
	;; [unrolled: 1-line block ×4, first 2 shown]
	v_sub_f16_e32 v21, v17, v21
	v_sub_f16_e32 v27, v25, v27
	v_fma_f16 v17, v17, 2.0, -v21
	v_fma_f16 v25, v25, 2.0, -v27
	v_mul_lo_u16_sdwa v26, v32, s0 dst_sel:DWORD dst_unused:UNUSED_PAD src0_sel:WORD_1 src1_sel:DWORD
	v_pack_b32_f16 v17, v17, v25
	v_add_f16_e32 v23, v16, v23
	v_sub_f16_e32 v25, v22, v28
	v_or_b32_e32 v26, v26, v33
	v_fma_f16 v16, v16, 2.0, -v23
	v_fma_f16 v22, v22, 2.0, -v25
	v_pack_b32_f16 v16, v16, v22
	v_and_b32_e32 v22, 0xffff, v26
	v_lshl_add_u32 v22, v22, 2, 0
	ds_write2_b32 v22, v17, v16 offset1:24
	v_pack_b32_f16 v16, v21, v27
	v_pack_b32_f16 v17, v23, v25
	ds_write2_b32 v22, v16, v17 offset0:48 offset1:72
	v_lshrrev_b32_e32 v17, 16, v15
	v_sub_f16_e32 v16, v15, v19
	v_sub_f16_e32 v21, v17, v34
	;; [unrolled: 1-line block ×4, first 2 shown]
	v_fma_f16 v15, v15, 2.0, -v16
	v_mul_lo_u16_sdwa v19, v30, s0 dst_sel:DWORD dst_unused:UNUSED_PAD src0_sel:WORD_1 src1_sel:DWORD
	v_fma_f16 v17, v17, 2.0, -v21
	v_fma_f16 v23, v39, 2.0, -v22
	;; [unrolled: 1-line block ×3, first 2 shown]
	v_lshrrev_b16_e32 v25, 14, v5
	v_or_b32_e32 v19, v19, v31
	v_sub_f16_e32 v23, v15, v23
	v_sub_f16_e32 v18, v17, v18
	v_add_f16_e32 v20, v16, v20
	v_sub_f16_e32 v22, v21, v22
	v_mul_lo_u16_e32 v5, 0x60, v25
	v_fma_f16 v15, v15, 2.0, -v23
	v_fma_f16 v17, v17, 2.0, -v18
	;; [unrolled: 1-line block ×4, first 2 shown]
	v_and_b32_e32 v19, 0xffff, v19
	v_sub_u16_e32 v0, v0, v5
	v_lshl_add_u32 v19, v19, 2, 0
	v_pack_b32_f16 v15, v15, v17
	v_pack_b32_f16 v16, v16, v21
	v_mul_u32_u24_sdwa v5, v0, v14 dst_sel:DWORD dst_unused:UNUSED_PAD src0_sel:BYTE_0 src1_sel:DWORD
	ds_write2_b32 v19, v15, v16 offset1:24
	v_pack_b32_f16 v15, v23, v18
	v_pack_b32_f16 v16, v20, v22
	v_lshlrev_b32_e32 v5, 2, v5
	ds_write2_b32 v19, v15, v16 offset0:48 offset1:72
	s_waitcnt lgkmcnt(0)
	s_barrier
	global_load_dwordx3 v[14:16], v5, s[8:9] offset:360
	v_mul_u32_u24_e32 v26, 0x2ab, v4
	v_mul_lo_u16_sdwa v5, v26, s0 dst_sel:DWORD dst_unused:UNUSED_PAD src0_sel:WORD_1 src1_sel:DWORD
	v_sub_u16_e32 v27, v4, v5
	v_mul_lo_u16_e32 v4, 3, v27
	v_lshlrev_b32_e32 v4, 2, v4
	global_load_dwordx3 v[17:19], v4, s[8:9] offset:360
	v_mul_u32_u24_e32 v28, 0x2ab, v13
	v_mul_lo_u16_sdwa v4, v28, s0 dst_sel:DWORD dst_unused:UNUSED_PAD src0_sel:WORD_1 src1_sel:DWORD
	v_sub_u16_e32 v29, v13, v4
	v_mul_lo_u16_e32 v4, 3, v29
	v_lshlrev_b32_e32 v4, 2, v4
	global_load_dwordx3 v[20:22], v4, s[8:9] offset:360
	ds_read_b32 v23, v10
	ds_read_b32 v30, v7 offset:11264
	ds_read2st64_b32 v[4:5], v7 offset0:20 offset1:24
	s_movk_i32 s0, 0x180
	s_waitcnt lgkmcnt(2)
	v_lshrrev_b32_e32 v24, 16, v23
	s_waitcnt vmcnt(2)
	v_mul_f16_sdwa v31, v14, v24 dst_sel:DWORD dst_unused:UNUSED_PAD src0_sel:WORD_1 src1_sel:DWORD
	v_fma_f16 v31, v14, v23, v31
	v_mul_f16_sdwa v23, v14, v23 dst_sel:DWORD dst_unused:UNUSED_PAD src0_sel:WORD_1 src1_sel:DWORD
	v_fma_f16 v32, v14, v24, -v23
	ds_read2st64_b32 v[23:24], v7 offset0:36 offset1:40
	s_waitcnt lgkmcnt(1)
	v_lshrrev_b32_e32 v14, 16, v5
	v_mul_f16_sdwa v33, v15, v5 dst_sel:DWORD dst_unused:UNUSED_PAD src0_sel:WORD_1 src1_sel:DWORD
	v_fma_f16 v33, v15, v14, -v33
	v_mul_f16_sdwa v14, v15, v14 dst_sel:DWORD dst_unused:UNUSED_PAD src0_sel:WORD_1 src1_sel:DWORD
	v_fma_f16 v34, v15, v5, v14
	s_waitcnt lgkmcnt(0)
	v_lshrrev_b32_e32 v5, 16, v23
	v_mul_f16_sdwa v14, v16, v23 dst_sel:DWORD dst_unused:UNUSED_PAD src0_sel:WORD_1 src1_sel:DWORD
	v_fma_f16 v35, v16, v5, -v14
	v_mul_f16_sdwa v5, v16, v5 dst_sel:DWORD dst_unused:UNUSED_PAD src0_sel:WORD_1 src1_sel:DWORD
	v_fma_f16 v16, v16, v23, v5
	v_lshrrev_b32_e32 v5, 16, v4
	s_waitcnt vmcnt(1)
	v_mul_f16_sdwa v14, v5, v17 dst_sel:DWORD dst_unused:UNUSED_PAD src0_sel:DWORD src1_sel:WORD_1
	v_fma_f16 v23, v4, v17, v14
	v_mul_f16_sdwa v4, v4, v17 dst_sel:DWORD dst_unused:UNUSED_PAD src0_sel:DWORD src1_sel:WORD_1
	v_fma_f16 v17, v5, v17, -v4
	ds_read2st64_b32 v[4:5], v7 offset0:28 offset1:32
	v_lshrrev_b32_e32 v14, 16, v30
	v_mul_f16_sdwa v15, v14, v19 dst_sel:DWORD dst_unused:UNUSED_PAD src0_sel:DWORD src1_sel:WORD_1
	v_fma_f16 v36, v30, v19, v15
	v_mul_f16_sdwa v15, v30, v19 dst_sel:DWORD dst_unused:UNUSED_PAD src0_sel:DWORD src1_sel:WORD_1
	v_fma_f16 v19, v14, v19, -v15
	s_waitcnt lgkmcnt(0)
	v_lshrrev_b32_e32 v14, 16, v5
	v_mul_f16_sdwa v15, v5, v18 dst_sel:DWORD dst_unused:UNUSED_PAD src0_sel:DWORD src1_sel:WORD_1
	v_fma_f16 v30, v14, v18, -v15
	v_mul_f16_sdwa v14, v14, v18 dst_sel:DWORD dst_unused:UNUSED_PAD src0_sel:DWORD src1_sel:WORD_1
	v_fma_f16 v18, v5, v18, v14
	v_lshrrev_b32_e32 v5, 16, v4
	s_waitcnt vmcnt(0)
	v_mul_f16_sdwa v14, v21, v5 dst_sel:DWORD dst_unused:UNUSED_PAD src0_sel:WORD_1 src1_sel:DWORD
	v_fma_f16 v37, v21, v4, v14
	v_mul_f16_sdwa v4, v21, v4 dst_sel:DWORD dst_unused:UNUSED_PAD src0_sel:WORD_1 src1_sel:DWORD
	v_fma_f16 v21, v21, v5, -v4
	ds_read2st64_b32 v[4:5], v7 offset0:8 offset1:16
	v_lshrrev_b32_e32 v14, 16, v24
	v_mul_f16_sdwa v15, v14, v22 dst_sel:DWORD dst_unused:UNUSED_PAD src0_sel:DWORD src1_sel:WORD_1
	v_fma_f16 v38, v24, v22, v15
	v_mul_f16_sdwa v15, v24, v22 dst_sel:DWORD dst_unused:UNUSED_PAD src0_sel:DWORD src1_sel:WORD_1
	v_fma_f16 v22, v14, v22, -v15
	s_waitcnt lgkmcnt(0)
	v_lshrrev_b32_e32 v24, 16, v5
	v_mul_f16_sdwa v14, v20, v5 dst_sel:DWORD dst_unused:UNUSED_PAD src0_sel:WORD_1 src1_sel:DWORD
	v_fma_f16 v39, v20, v24, -v14
	ds_read2st64_b32 v[14:15], v7 offset1:4
	v_mul_f16_sdwa v24, v20, v24 dst_sel:DWORD dst_unused:UNUSED_PAD src0_sel:WORD_1 src1_sel:DWORD
	v_fma_f16 v5, v20, v5, v24
	v_mul_u32_u24_e32 v20, 0x180, v25
	v_or_b32_sdwa v0, v20, v0 dst_sel:DWORD dst_unused:UNUSED_PAD src0_sel:DWORD src1_sel:BYTE_0
	s_waitcnt lgkmcnt(0)
	v_lshrrev_b32_e32 v24, 16, v14
	v_sub_f16_e32 v20, v14, v34
	v_sub_f16_e32 v25, v24, v33
	;; [unrolled: 1-line block ×4, first 2 shown]
	v_fma_f16 v24, v24, 2.0, -v25
	v_fma_f16 v31, v31, 2.0, -v16
	;; [unrolled: 1-line block ×4, first 2 shown]
	v_sub_f16_e32 v31, v14, v31
	v_sub_f16_e32 v32, v24, v32
	v_fma_f16 v14, v14, 2.0, -v31
	v_fma_f16 v24, v24, 2.0, -v32
	v_pack_b32_f16 v14, v14, v24
	v_add_f16_e32 v24, v20, v33
	v_sub_f16_e32 v16, v25, v16
	v_fma_f16 v20, v20, 2.0, -v24
	v_fma_f16 v25, v25, 2.0, -v16
	v_pack_b32_f16 v20, v20, v25
	v_lshl_add_u32 v0, v0, 2, 0
	s_barrier
	ds_write2_b32 v0, v14, v20 offset1:96
	v_pack_b32_f16 v14, v31, v32
	v_pack_b32_f16 v16, v24, v16
	v_add_u32_e32 v0, 0x200, v0
	ds_write2_b32 v0, v14, v16 offset0:64 offset1:160
	v_lshrrev_b32_e32 v14, 16, v15
	v_sub_f16_e32 v0, v15, v37
	v_sub_f16_e32 v20, v14, v21
	;; [unrolled: 1-line block ×4, first 2 shown]
	v_fma_f16 v15, v15, 2.0, -v0
	v_fma_f16 v14, v14, 2.0, -v20
	;; [unrolled: 1-line block ×4, first 2 shown]
	v_sub_f16_e32 v5, v15, v5
	v_sub_f16_e32 v24, v14, v24
	v_mul_lo_u16_sdwa v16, v28, s0 dst_sel:DWORD dst_unused:UNUSED_PAD src0_sel:WORD_1 src1_sel:DWORD
	v_fma_f16 v15, v15, 2.0, -v5
	v_fma_f16 v14, v14, 2.0, -v24
	v_or_b32_e32 v16, v16, v29
	v_pack_b32_f16 v14, v15, v14
	v_add_f16_e32 v15, v0, v22
	v_sub_f16_e32 v21, v20, v21
	v_fma_f16 v0, v0, 2.0, -v15
	v_fma_f16 v20, v20, 2.0, -v21
	v_and_b32_e32 v16, 0xffff, v16
	v_pack_b32_f16 v0, v0, v20
	v_lshl_add_u32 v16, v16, 2, 0
	ds_write2_b32 v16, v14, v0 offset1:96
	v_lshrrev_b32_e32 v14, 16, v4
	v_sub_f16_e32 v0, v4, v18
	v_pack_b32_f16 v5, v5, v24
	v_sub_f16_e32 v18, v14, v30
	v_sub_f16_e32 v20, v23, v36
	;; [unrolled: 1-line block ×3, first 2 shown]
	v_pack_b32_f16 v15, v15, v21
	v_add_u32_e32 v16, 0x200, v16
	v_fma_f16 v4, v4, 2.0, -v0
	v_fma_f16 v14, v14, 2.0, -v18
	;; [unrolled: 1-line block ×4, first 2 shown]
	ds_write2_b32 v16, v5, v15 offset0:64 offset1:160
	v_mul_lo_u16_sdwa v5, v26, s0 dst_sel:DWORD dst_unused:UNUSED_PAD src0_sel:WORD_1 src1_sel:DWORD
	v_sub_f16_e32 v22, v4, v22
	v_sub_f16_e32 v17, v14, v17
	v_add_f16_e32 v19, v0, v19
	v_sub_f16_e32 v20, v18, v20
	v_or_b32_e32 v5, v5, v27
	v_fma_f16 v4, v4, 2.0, -v22
	v_fma_f16 v14, v14, 2.0, -v17
	;; [unrolled: 1-line block ×4, first 2 shown]
	v_and_b32_e32 v5, 0xffff, v5
	v_lshl_add_u32 v5, v5, 2, 0
	v_pack_b32_f16 v4, v4, v14
	v_pack_b32_f16 v0, v0, v18
	ds_write2_b32 v5, v4, v0 offset1:96
	v_pack_b32_f16 v0, v22, v17
	v_pack_b32_f16 v4, v19, v20
	v_add_u32_e32 v5, 0x200, v5
	ds_write2_b32 v5, v0, v4 offset0:64 offset1:160
	v_mul_u32_u24_e32 v0, 3, v3
	v_lshlrev_b32_e32 v0, 2, v0
	s_waitcnt lgkmcnt(0)
	s_barrier
	global_load_dwordx3 v[14:16], v0, s[8:9] offset:1512
	global_load_dwordx3 v[17:19], v0, s[8:9] offset:3048
	v_add_u32_e32 v0, 0xffffff80, v3
	v_cmp_gt_u32_e64 s[0:1], s0, v13
	v_cndmask_b32_e64 v0, v0, v13, s[0:1]
	v_mov_b32_e32 v5, 0
	v_mul_i32_i24_e32 v4, 3, v0
	v_lshlrev_b64 v[20:21], 2, v[4:5]
	v_mov_b32_e32 v27, s9
	v_add_co_u32_e64 v20, s[0:1], s8, v20
	v_addc_co_u32_e64 v21, s[0:1], v27, v21, s[0:1]
	global_load_dwordx3 v[20:22], v[20:21], off offset:1512
	ds_read_b32 v4, v10
	ds_read2st64_b32 v[23:24], v7 offset0:20 offset1:24
	ds_read_b32 v28, v7 offset:11264
	s_movk_i32 s0, 0x17f
	v_cmp_lt_u32_e64 s[0:1], s0, v13
	s_waitcnt lgkmcnt(2)
	v_lshrrev_b32_e32 v25, 16, v4
	s_waitcnt vmcnt(2)
	v_mul_f16_sdwa v26, v14, v25 dst_sel:DWORD dst_unused:UNUSED_PAD src0_sel:WORD_1 src1_sel:DWORD
	v_fma_f16 v29, v14, v4, v26
	v_mul_f16_sdwa v4, v14, v4 dst_sel:DWORD dst_unused:UNUSED_PAD src0_sel:WORD_1 src1_sel:DWORD
	v_fma_f16 v4, v14, v25, -v4
	ds_read2st64_b32 v[25:26], v7 offset0:36 offset1:40
	s_waitcnt lgkmcnt(2)
	v_lshrrev_b32_e32 v14, 16, v24
	v_mul_f16_sdwa v30, v15, v14 dst_sel:DWORD dst_unused:UNUSED_PAD src0_sel:WORD_1 src1_sel:DWORD
	v_fma_f16 v30, v15, v24, v30
	v_mul_f16_sdwa v24, v15, v24 dst_sel:DWORD dst_unused:UNUSED_PAD src0_sel:WORD_1 src1_sel:DWORD
	v_fma_f16 v24, v15, v14, -v24
	s_waitcnt lgkmcnt(0)
	v_lshrrev_b32_e32 v14, 16, v25
	v_mul_f16_sdwa v15, v16, v25 dst_sel:DWORD dst_unused:UNUSED_PAD src0_sel:WORD_1 src1_sel:DWORD
	v_fma_f16 v31, v16, v14, -v15
	v_mul_f16_sdwa v14, v16, v14 dst_sel:DWORD dst_unused:UNUSED_PAD src0_sel:WORD_1 src1_sel:DWORD
	v_fma_f16 v25, v16, v25, v14
	v_lshrrev_b32_e32 v14, 16, v23
	s_waitcnt vmcnt(1)
	v_mul_f16_sdwa v15, v14, v17 dst_sel:DWORD dst_unused:UNUSED_PAD src0_sel:DWORD src1_sel:WORD_1
	v_fma_f16 v32, v23, v17, v15
	v_mul_f16_sdwa v15, v23, v17 dst_sel:DWORD dst_unused:UNUSED_PAD src0_sel:DWORD src1_sel:WORD_1
	v_fma_f16 v23, v14, v17, -v15
	ds_read2st64_b32 v[14:15], v7 offset0:28 offset1:32
	v_lshrrev_b32_e32 v16, 16, v28
	v_mul_f16_sdwa v17, v16, v19 dst_sel:DWORD dst_unused:UNUSED_PAD src0_sel:DWORD src1_sel:WORD_1
	v_fma_f16 v33, v28, v19, v17
	v_mul_f16_sdwa v17, v28, v19 dst_sel:DWORD dst_unused:UNUSED_PAD src0_sel:DWORD src1_sel:WORD_1
	v_fma_f16 v19, v16, v19, -v17
	s_waitcnt lgkmcnt(0)
	v_lshrrev_b32_e32 v16, 16, v15
	v_mul_f16_sdwa v17, v15, v18 dst_sel:DWORD dst_unused:UNUSED_PAD src0_sel:DWORD src1_sel:WORD_1
	v_fma_f16 v28, v16, v18, -v17
	v_mul_f16_sdwa v16, v16, v18 dst_sel:DWORD dst_unused:UNUSED_PAD src0_sel:DWORD src1_sel:WORD_1
	v_fma_f16 v18, v15, v18, v16
	v_lshrrev_b32_e32 v15, 16, v14
	s_waitcnt vmcnt(0)
	v_mul_f16_sdwa v16, v21, v15 dst_sel:DWORD dst_unused:UNUSED_PAD src0_sel:WORD_1 src1_sel:DWORD
	v_fma_f16 v34, v21, v14, v16
	v_mul_f16_sdwa v14, v21, v14 dst_sel:DWORD dst_unused:UNUSED_PAD src0_sel:WORD_1 src1_sel:DWORD
	v_lshrrev_b32_e32 v16, 16, v26
	v_fma_f16 v21, v21, v15, -v14
	ds_read2st64_b32 v[14:15], v7 offset0:8 offset1:16
	v_mul_f16_sdwa v17, v16, v22 dst_sel:DWORD dst_unused:UNUSED_PAD src0_sel:DWORD src1_sel:WORD_1
	v_fma_f16 v35, v26, v22, v17
	v_mul_f16_sdwa v17, v26, v22 dst_sel:DWORD dst_unused:UNUSED_PAD src0_sel:DWORD src1_sel:WORD_1
	v_fma_f16 v22, v16, v22, -v17
	ds_read2st64_b32 v[16:17], v7 offset1:4
	s_waitcnt lgkmcnt(1)
	v_lshrrev_b32_e32 v26, 16, v15
	v_mul_f16_sdwa v36, v20, v15 dst_sel:DWORD dst_unused:UNUSED_PAD src0_sel:WORD_1 src1_sel:DWORD
	v_fma_f16 v36, v20, v26, -v36
	v_mul_f16_sdwa v26, v20, v26 dst_sel:DWORD dst_unused:UNUSED_PAD src0_sel:WORD_1 src1_sel:DWORD
	v_fma_f16 v15, v20, v15, v26
	s_waitcnt lgkmcnt(0)
	v_lshrrev_b32_e32 v26, 16, v16
	v_sub_f16_e32 v20, v16, v30
	v_sub_f16_e32 v24, v26, v24
	;; [unrolled: 1-line block ×4, first 2 shown]
	v_fma_f16 v26, v26, 2.0, -v24
	v_fma_f16 v29, v29, 2.0, -v25
	v_fma_f16 v4, v4, 2.0, -v30
	v_fma_f16 v16, v16, 2.0, -v20
	v_sub_f16_e32 v29, v16, v29
	v_sub_f16_e32 v4, v26, v4
	v_fma_f16 v16, v16, 2.0, -v29
	v_fma_f16 v26, v26, 2.0, -v4
	v_pack_b32_f16 v16, v16, v26
	v_add_f16_e32 v26, v20, v30
	v_sub_f16_e32 v25, v24, v25
	v_fma_f16 v20, v20, 2.0, -v26
	v_fma_f16 v24, v24, 2.0, -v25
	v_pack_b32_f16 v20, v20, v24
	s_barrier
	ds_write2st64_b32 v7, v16, v20 offset1:6
	v_pack_b32_f16 v4, v29, v4
	v_pack_b32_f16 v16, v26, v25
	v_mov_b32_e32 v20, 0x600
	ds_write2st64_b32 v7, v4, v16 offset0:12 offset1:18
	v_lshrrev_b32_e32 v16, 16, v17
	v_cndmask_b32_e64 v13, 0, v20, s[0:1]
	v_sub_f16_e32 v4, v17, v34
	v_or_b32_e32 v0, v13, v0
	v_sub_f16_e32 v13, v16, v21
	v_sub_f16_e32 v20, v15, v35
	;; [unrolled: 1-line block ×3, first 2 shown]
	v_fma_f16 v17, v17, 2.0, -v4
	v_fma_f16 v16, v16, 2.0, -v13
	;; [unrolled: 1-line block ×4, first 2 shown]
	v_sub_f16_e32 v15, v17, v15
	v_sub_f16_e32 v22, v16, v22
	v_fma_f16 v17, v17, 2.0, -v15
	v_fma_f16 v16, v16, 2.0, -v22
	v_pack_b32_f16 v16, v17, v16
	v_add_f16_e32 v17, v4, v21
	v_sub_f16_e32 v20, v13, v20
	v_fma_f16 v4, v4, 2.0, -v17
	v_fma_f16 v13, v13, 2.0, -v20
	v_pack_b32_f16 v4, v4, v13
	v_lshl_add_u32 v0, v0, 2, 0
	v_lshrrev_b32_e32 v13, 16, v14
	ds_write2st64_b32 v0, v16, v4 offset1:6
	v_sub_f16_e32 v4, v14, v18
	v_sub_f16_e32 v16, v13, v28
	;; [unrolled: 1-line block ×4, first 2 shown]
	v_fma_f16 v14, v14, 2.0, -v4
	v_pack_b32_f16 v15, v15, v22
	v_fma_f16 v13, v13, 2.0, -v16
	v_fma_f16 v21, v32, 2.0, -v18
	;; [unrolled: 1-line block ×3, first 2 shown]
	v_sub_f16_e32 v21, v14, v21
	v_sub_f16_e32 v22, v13, v22
	v_add_f16_e32 v19, v4, v19
	v_sub_f16_e32 v18, v16, v18
	v_fma_f16 v14, v14, 2.0, -v21
	v_fma_f16 v13, v13, 2.0, -v22
	v_fma_f16 v4, v4, 2.0, -v19
	v_fma_f16 v16, v16, 2.0, -v18
	v_pack_b32_f16 v17, v17, v20
	ds_write2st64_b32 v0, v15, v17 offset0:12 offset1:18
	v_pack_b32_f16 v0, v14, v13
	v_pack_b32_f16 v4, v4, v16
	ds_write2st64_b32 v7, v0, v4 offset0:26 offset1:32
	v_pack_b32_f16 v0, v21, v22
	v_pack_b32_f16 v4, v19, v18
	ds_write2st64_b32 v7, v0, v4 offset0:38 offset1:44
	v_add_co_u32_e64 v0, s[0:1], s8, v6
	v_addc_co_u32_e64 v4, s[0:1], 0, v27, s[0:1]
	v_add_co_u32_e64 v6, s[0:1], s8, v8
	v_addc_co_u32_e64 v8, s[0:1], 0, v27, s[0:1]
	;; [unrolled: 2-line block ×4, first 2 shown]
	v_add_co_u32_e64 v6, s[0:1], s8, v11
	s_waitcnt lgkmcnt(0)
	s_barrier
	global_load_dword v0, v[13:14], off offset:2024
	global_load_dword v4, v[15:16], off offset:3048
	v_addc_co_u32_e64 v8, s[0:1], 0, v27, s[0:1]
	v_add_co_u32_e64 v13, s[0:1], s5, v6
	v_addc_co_u32_e64 v14, s[0:1], 0, v8, s[0:1]
	v_add_co_u32_e64 v8, s[0:1], s8, v12
	v_addc_co_u32_e64 v12, s[0:1], 0, v27, s[0:1]
	global_load_dword v6, v[15:16], off offset:4072
	global_load_dword v19, v[13:14], off offset:2024
	v_add_co_u32_e64 v11, s[0:1], s5, v8
	v_addc_co_u32_e64 v12, s[0:1], 0, v12, s[0:1]
	v_add_co_u32_e64 v8, s[0:1], s8, v9
	v_addc_co_u32_e64 v9, s[0:1], 0, v27, s[0:1]
	;; [unrolled: 2-line block ×3, first 2 shown]
	global_load_dword v20, v[8:9], off offset:2024
	global_load_dword v21, v[11:12], off offset:2024
	ds_read2st64_b32 v[8:9], v7 offset0:20 offset1:24
	ds_read2st64_b32 v[11:12], v7 offset1:4
	ds_read2st64_b32 v[13:14], v7 offset0:28 offset1:32
	ds_read2st64_b32 v[15:16], v7 offset0:8 offset1:16
	;; [unrolled: 1-line block ×3, first 2 shown]
	s_waitcnt vmcnt(5) lgkmcnt(4)
	v_pk_mul_f16 v22, v0, v9 op_sel:[0,1]
	v_pk_fma_f16 v23, v0, v9, v22 op_sel:[0,0,1] op_sel_hi:[1,1,0]
	v_pk_fma_f16 v0, v0, v9, v22 op_sel:[0,0,1] op_sel_hi:[1,0,0] neg_lo:[1,0,0] neg_hi:[1,0,0]
	s_waitcnt vmcnt(4) lgkmcnt(2)
	v_pk_mul_f16 v9, v4, v13 op_sel:[0,1]
	v_pk_fma_f16 v22, v4, v13, v9 op_sel:[0,0,1] op_sel_hi:[1,1,0]
	v_pk_fma_f16 v4, v4, v13, v9 op_sel:[0,0,1] op_sel_hi:[1,0,0] neg_lo:[1,0,0] neg_hi:[1,0,0]
	v_bfi_b32 v0, s4, v23, v0
	v_bfi_b32 v4, s4, v22, v4
	v_pk_add_f16 v0, v11, v0 neg_lo:[0,1] neg_hi:[0,1]
	v_pk_add_f16 v4, v12, v4 neg_lo:[0,1] neg_hi:[0,1]
	v_pk_fma_f16 v9, v11, 2.0, v0 op_sel_hi:[1,0,1] neg_lo:[0,0,1] neg_hi:[0,0,1]
	v_pk_fma_f16 v11, v12, 2.0, v4 op_sel_hi:[1,0,1] neg_lo:[0,0,1] neg_hi:[0,0,1]
	s_waitcnt vmcnt(3)
	v_pk_mul_f16 v12, v6, v14 op_sel:[0,1]
	v_pk_fma_f16 v13, v6, v14, v12 op_sel:[0,0,1] op_sel_hi:[1,1,0]
	v_pk_fma_f16 v6, v6, v14, v12 op_sel:[0,0,1] op_sel_hi:[1,0,0] neg_lo:[1,0,0] neg_hi:[1,0,0]
	s_waitcnt vmcnt(2) lgkmcnt(0)
	v_pk_mul_f16 v12, v19, v18 op_sel:[0,1]
	v_bfi_b32 v6, s4, v13, v6
	v_pk_fma_f16 v13, v19, v18, v12 op_sel:[0,0,1] op_sel_hi:[1,1,0]
	v_pk_fma_f16 v12, v19, v18, v12 op_sel:[0,0,1] op_sel_hi:[1,0,0] neg_lo:[1,0,0] neg_hi:[1,0,0]
	ds_read_b32 v14, v10
	ds_read_b32 v18, v7 offset:11264
	v_bfi_b32 v12, s4, v13, v12
	v_pk_add_f16 v12, v16, v12 neg_lo:[0,1] neg_hi:[0,1]
	v_pk_fma_f16 v13, v16, 2.0, v12 op_sel_hi:[1,0,1] neg_lo:[0,0,1] neg_hi:[0,0,1]
	v_pk_add_f16 v6, v15, v6 neg_lo:[0,1] neg_hi:[0,1]
	v_pk_fma_f16 v15, v15, 2.0, v6 op_sel_hi:[1,0,1] neg_lo:[0,0,1] neg_hi:[0,0,1]
	s_waitcnt vmcnt(0) lgkmcnt(0)
	v_pk_mul_f16 v16, v18, v21 op_sel:[0,1]
	v_pk_fma_f16 v19, v18, v21, v16 op_sel:[0,0,1] op_sel_hi:[1,1,0]
	v_pk_fma_f16 v16, v18, v21, v16 op_sel:[0,0,1] op_sel_hi:[1,0,0] neg_lo:[0,0,1] neg_hi:[0,0,1]
	v_pk_mul_f16 v18, v20, v17 op_sel:[0,1]
	v_bfi_b32 v16, s4, v19, v16
	v_pk_fma_f16 v19, v20, v17, v18 op_sel:[0,0,1] op_sel_hi:[1,1,0]
	v_pk_fma_f16 v17, v20, v17, v18 op_sel:[0,0,1] op_sel_hi:[1,0,0] neg_lo:[1,0,0] neg_hi:[1,0,0]
	v_bfi_b32 v17, s4, v19, v17
	v_pk_add_f16 v16, v8, v16 neg_lo:[0,1] neg_hi:[0,1]
	v_pk_add_f16 v17, v14, v17 neg_lo:[0,1] neg_hi:[0,1]
	v_pk_fma_f16 v8, v8, 2.0, v16 op_sel_hi:[1,0,1] neg_lo:[0,0,1] neg_hi:[0,0,1]
	v_pk_fma_f16 v14, v14, 2.0, v17 op_sel_hi:[1,0,1] neg_lo:[0,0,1] neg_hi:[0,0,1]
	s_barrier
	ds_write2st64_b32 v7, v9, v11 offset1:4
	ds_write2st64_b32 v7, v0, v4 offset0:24 offset1:28
	ds_write_b32 v7, v15 offset:2048
	ds_write_b32 v7, v6 offset:8192
	ds_write2st64_b32 v10, v14, v17 offset1:24
	ds_write2st64_b32 v7, v13, v8 offset0:16 offset1:20
	ds_write2st64_b32 v7, v12, v16 offset0:40 offset1:44
	s_waitcnt lgkmcnt(0)
	s_barrier
	s_and_saveexec_b64 s[0:1], vcc
	s_cbranch_execz .LBB0_19
; %bb.18:
	v_lshl_add_u32 v8, v3, 2, 0
	v_mov_b32_e32 v4, v5
	ds_read2st64_b32 v[6:7], v8 offset1:4
	v_mov_b32_e32 v0, s3
	v_add_co_u32_e32 v9, vcc, s2, v1
	v_addc_co_u32_e32 v10, vcc, v0, v2, vcc
	v_lshlrev_b64 v[0:1], 2, v[3:4]
	v_add_u32_e32 v4, 0x100, v3
	v_add_co_u32_e32 v0, vcc, v9, v0
	v_addc_co_u32_e32 v1, vcc, v10, v1, vcc
	s_waitcnt lgkmcnt(0)
	global_store_dword v[0:1], v6, off
	v_lshlrev_b64 v[0:1], 2, v[4:5]
	v_add_u32_e32 v4, 0x200, v3
	v_add_co_u32_e32 v0, vcc, v9, v0
	v_addc_co_u32_e32 v1, vcc, v10, v1, vcc
	global_store_dword v[0:1], v7, off
	ds_read2st64_b32 v[0:1], v8 offset0:8 offset1:12
	v_lshlrev_b64 v[6:7], 2, v[4:5]
	v_add_u32_e32 v4, 0x300, v3
	v_add_co_u32_e32 v6, vcc, v9, v6
	v_addc_co_u32_e32 v7, vcc, v10, v7, vcc
	s_waitcnt lgkmcnt(0)
	global_store_dword v[6:7], v0, off
	v_lshlrev_b64 v[6:7], 2, v[4:5]
	v_add_u32_e32 v4, 0x400, v3
	v_add_co_u32_e32 v6, vcc, v9, v6
	v_addc_co_u32_e32 v7, vcc, v10, v7, vcc
	global_store_dword v[6:7], v1, off
	ds_read2st64_b32 v[0:1], v8 offset0:16 offset1:20
	;; [unrolled: 12-line block ×4, first 2 shown]
	v_lshlrev_b64 v[6:7], 2, v[4:5]
	v_add_u32_e32 v4, 0x900, v3
	v_add_co_u32_e32 v6, vcc, v9, v6
	v_addc_co_u32_e32 v7, vcc, v10, v7, vcc
	s_waitcnt lgkmcnt(0)
	global_store_dword v[6:7], v0, off
	v_lshlrev_b64 v[6:7], 2, v[4:5]
	v_add_u32_e32 v4, 0xa00, v3
	v_add_co_u32_e32 v6, vcc, v9, v6
	v_addc_co_u32_e32 v7, vcc, v10, v7, vcc
	global_store_dword v[6:7], v1, off
	v_lshlrev_b64 v[6:7], 2, v[4:5]
	ds_read2st64_b32 v[0:1], v8 offset0:40 offset1:44
	v_add_u32_e32 v4, 0xb00, v3
	v_add_co_u32_e32 v6, vcc, v9, v6
	v_lshlrev_b64 v[2:3], 2, v[4:5]
	v_addc_co_u32_e32 v7, vcc, v10, v7, vcc
	v_add_co_u32_e32 v2, vcc, v9, v2
	v_addc_co_u32_e32 v3, vcc, v10, v3, vcc
	s_waitcnt lgkmcnt(0)
	global_store_dword v[6:7], v0, off
	global_store_dword v[2:3], v1, off
.LBB0_19:
	s_endpgm
	.section	.rodata,"a",@progbits
	.p2align	6, 0x0
	.amdhsa_kernel fft_rtc_back_len3072_factors_6_4_4_4_4_2_wgs_256_tpt_256_halfLds_half_ip_CI_unitstride_sbrr_C2R_dirReg
		.amdhsa_group_segment_fixed_size 0
		.amdhsa_private_segment_fixed_size 0
		.amdhsa_kernarg_size 88
		.amdhsa_user_sgpr_count 6
		.amdhsa_user_sgpr_private_segment_buffer 1
		.amdhsa_user_sgpr_dispatch_ptr 0
		.amdhsa_user_sgpr_queue_ptr 0
		.amdhsa_user_sgpr_kernarg_segment_ptr 1
		.amdhsa_user_sgpr_dispatch_id 0
		.amdhsa_user_sgpr_flat_scratch_init 0
		.amdhsa_user_sgpr_private_segment_size 0
		.amdhsa_uses_dynamic_stack 0
		.amdhsa_system_sgpr_private_segment_wavefront_offset 0
		.amdhsa_system_sgpr_workgroup_id_x 1
		.amdhsa_system_sgpr_workgroup_id_y 0
		.amdhsa_system_sgpr_workgroup_id_z 0
		.amdhsa_system_sgpr_workgroup_info 0
		.amdhsa_system_vgpr_workitem_id 0
		.amdhsa_next_free_vgpr 42
		.amdhsa_next_free_sgpr 22
		.amdhsa_reserve_vcc 1
		.amdhsa_reserve_flat_scratch 0
		.amdhsa_float_round_mode_32 0
		.amdhsa_float_round_mode_16_64 0
		.amdhsa_float_denorm_mode_32 3
		.amdhsa_float_denorm_mode_16_64 3
		.amdhsa_dx10_clamp 1
		.amdhsa_ieee_mode 1
		.amdhsa_fp16_overflow 0
		.amdhsa_exception_fp_ieee_invalid_op 0
		.amdhsa_exception_fp_denorm_src 0
		.amdhsa_exception_fp_ieee_div_zero 0
		.amdhsa_exception_fp_ieee_overflow 0
		.amdhsa_exception_fp_ieee_underflow 0
		.amdhsa_exception_fp_ieee_inexact 0
		.amdhsa_exception_int_div_zero 0
	.end_amdhsa_kernel
	.text
.Lfunc_end0:
	.size	fft_rtc_back_len3072_factors_6_4_4_4_4_2_wgs_256_tpt_256_halfLds_half_ip_CI_unitstride_sbrr_C2R_dirReg, .Lfunc_end0-fft_rtc_back_len3072_factors_6_4_4_4_4_2_wgs_256_tpt_256_halfLds_half_ip_CI_unitstride_sbrr_C2R_dirReg
                                        ; -- End function
	.section	.AMDGPU.csdata,"",@progbits
; Kernel info:
; codeLenInByte = 8864
; NumSgprs: 26
; NumVgprs: 42
; ScratchSize: 0
; MemoryBound: 0
; FloatMode: 240
; IeeeMode: 1
; LDSByteSize: 0 bytes/workgroup (compile time only)
; SGPRBlocks: 3
; VGPRBlocks: 10
; NumSGPRsForWavesPerEU: 26
; NumVGPRsForWavesPerEU: 42
; Occupancy: 5
; WaveLimiterHint : 1
; COMPUTE_PGM_RSRC2:SCRATCH_EN: 0
; COMPUTE_PGM_RSRC2:USER_SGPR: 6
; COMPUTE_PGM_RSRC2:TRAP_HANDLER: 0
; COMPUTE_PGM_RSRC2:TGID_X_EN: 1
; COMPUTE_PGM_RSRC2:TGID_Y_EN: 0
; COMPUTE_PGM_RSRC2:TGID_Z_EN: 0
; COMPUTE_PGM_RSRC2:TIDIG_COMP_CNT: 0
	.type	__hip_cuid_45bb8ef1ff0496ed,@object ; @__hip_cuid_45bb8ef1ff0496ed
	.section	.bss,"aw",@nobits
	.globl	__hip_cuid_45bb8ef1ff0496ed
__hip_cuid_45bb8ef1ff0496ed:
	.byte	0                               ; 0x0
	.size	__hip_cuid_45bb8ef1ff0496ed, 1

	.ident	"AMD clang version 19.0.0git (https://github.com/RadeonOpenCompute/llvm-project roc-6.4.0 25133 c7fe45cf4b819c5991fe208aaa96edf142730f1d)"
	.section	".note.GNU-stack","",@progbits
	.addrsig
	.addrsig_sym __hip_cuid_45bb8ef1ff0496ed
	.amdgpu_metadata
---
amdhsa.kernels:
  - .args:
      - .actual_access:  read_only
        .address_space:  global
        .offset:         0
        .size:           8
        .value_kind:     global_buffer
      - .offset:         8
        .size:           8
        .value_kind:     by_value
      - .actual_access:  read_only
        .address_space:  global
        .offset:         16
        .size:           8
        .value_kind:     global_buffer
      - .actual_access:  read_only
        .address_space:  global
        .offset:         24
        .size:           8
        .value_kind:     global_buffer
      - .offset:         32
        .size:           8
        .value_kind:     by_value
      - .actual_access:  read_only
        .address_space:  global
        .offset:         40
        .size:           8
        .value_kind:     global_buffer
      - .actual_access:  read_only
        .address_space:  global
        .offset:         48
        .size:           8
        .value_kind:     global_buffer
      - .offset:         56
        .size:           4
        .value_kind:     by_value
      - .actual_access:  read_only
        .address_space:  global
        .offset:         64
        .size:           8
        .value_kind:     global_buffer
      - .actual_access:  read_only
        .address_space:  global
        .offset:         72
        .size:           8
        .value_kind:     global_buffer
      - .address_space:  global
        .offset:         80
        .size:           8
        .value_kind:     global_buffer
    .group_segment_fixed_size: 0
    .kernarg_segment_align: 8
    .kernarg_segment_size: 88
    .language:       OpenCL C
    .language_version:
      - 2
      - 0
    .max_flat_workgroup_size: 256
    .name:           fft_rtc_back_len3072_factors_6_4_4_4_4_2_wgs_256_tpt_256_halfLds_half_ip_CI_unitstride_sbrr_C2R_dirReg
    .private_segment_fixed_size: 0
    .sgpr_count:     26
    .sgpr_spill_count: 0
    .symbol:         fft_rtc_back_len3072_factors_6_4_4_4_4_2_wgs_256_tpt_256_halfLds_half_ip_CI_unitstride_sbrr_C2R_dirReg.kd
    .uniform_work_group_size: 1
    .uses_dynamic_stack: false
    .vgpr_count:     42
    .vgpr_spill_count: 0
    .wavefront_size: 64
amdhsa.target:   amdgcn-amd-amdhsa--gfx906
amdhsa.version:
  - 1
  - 2
...

	.end_amdgpu_metadata
